;; amdgpu-corpus repo=ROCm/rocFFT kind=compiled arch=gfx1201 opt=O3
	.text
	.amdgcn_target "amdgcn-amd-amdhsa--gfx1201"
	.amdhsa_code_object_version 6
	.protected	fft_rtc_back_len990_factors_2_3_3_5_11_wgs_110_tpt_110_sp_op_CI_CI_unitstride_sbrr_R2C_dirReg ; -- Begin function fft_rtc_back_len990_factors_2_3_3_5_11_wgs_110_tpt_110_sp_op_CI_CI_unitstride_sbrr_R2C_dirReg
	.globl	fft_rtc_back_len990_factors_2_3_3_5_11_wgs_110_tpt_110_sp_op_CI_CI_unitstride_sbrr_R2C_dirReg
	.p2align	8
	.type	fft_rtc_back_len990_factors_2_3_3_5_11_wgs_110_tpt_110_sp_op_CI_CI_unitstride_sbrr_R2C_dirReg,@function
fft_rtc_back_len990_factors_2_3_3_5_11_wgs_110_tpt_110_sp_op_CI_CI_unitstride_sbrr_R2C_dirReg: ; @fft_rtc_back_len990_factors_2_3_3_5_11_wgs_110_tpt_110_sp_op_CI_CI_unitstride_sbrr_R2C_dirReg
; %bb.0:
	s_clause 0x2
	s_load_b128 s[8:11], s[0:1], 0x0
	s_load_b128 s[4:7], s[0:1], 0x58
	;; [unrolled: 1-line block ×3, first 2 shown]
	v_mul_u32_u24_e32 v1, 0x254, v0
	v_mov_b32_e32 v3, 0
	s_delay_alu instid0(VALU_DEP_2) | instskip(NEXT) | instid1(VALU_DEP_1)
	v_lshrrev_b32_e32 v1, 16, v1
	v_add_nc_u32_e32 v5, ttmp9, v1
	v_mov_b32_e32 v1, 0
	v_mov_b32_e32 v2, 0
	;; [unrolled: 1-line block ×3, first 2 shown]
	s_wait_kmcnt 0x0
	v_cmp_lt_u64_e64 s2, s[10:11], 2
	s_delay_alu instid0(VALU_DEP_1)
	s_and_b32 vcc_lo, exec_lo, s2
	s_cbranch_vccnz .LBB0_8
; %bb.1:
	s_load_b64 s[2:3], s[0:1], 0x10
	v_mov_b32_e32 v1, 0
	v_mov_b32_e32 v2, 0
	s_add_nc_u64 s[16:17], s[14:15], 8
	s_add_nc_u64 s[18:19], s[12:13], 8
	s_mov_b64 s[20:21], 1
	s_delay_alu instid0(VALU_DEP_1)
	v_dual_mov_b32 v41, v2 :: v_dual_mov_b32 v40, v1
	s_wait_kmcnt 0x0
	s_add_nc_u64 s[22:23], s[2:3], 8
	s_mov_b32 s3, 0
.LBB0_2:                                ; =>This Inner Loop Header: Depth=1
	s_load_b64 s[24:25], s[22:23], 0x0
                                        ; implicit-def: $vgpr44_vgpr45
	s_mov_b32 s2, exec_lo
	s_wait_kmcnt 0x0
	v_or_b32_e32 v4, s25, v6
	s_delay_alu instid0(VALU_DEP_1)
	v_cmpx_ne_u64_e32 0, v[3:4]
	s_wait_alu 0xfffe
	s_xor_b32 s26, exec_lo, s2
	s_cbranch_execz .LBB0_4
; %bb.3:                                ;   in Loop: Header=BB0_2 Depth=1
	s_cvt_f32_u32 s2, s24
	s_cvt_f32_u32 s27, s25
	s_sub_nc_u64 s[30:31], 0, s[24:25]
	s_wait_alu 0xfffe
	s_delay_alu instid0(SALU_CYCLE_1) | instskip(SKIP_1) | instid1(SALU_CYCLE_2)
	s_fmamk_f32 s2, s27, 0x4f800000, s2
	s_wait_alu 0xfffe
	v_s_rcp_f32 s2, s2
	s_delay_alu instid0(TRANS32_DEP_1) | instskip(SKIP_1) | instid1(SALU_CYCLE_2)
	s_mul_f32 s2, s2, 0x5f7ffffc
	s_wait_alu 0xfffe
	s_mul_f32 s27, s2, 0x2f800000
	s_wait_alu 0xfffe
	s_delay_alu instid0(SALU_CYCLE_2) | instskip(SKIP_1) | instid1(SALU_CYCLE_2)
	s_trunc_f32 s27, s27
	s_wait_alu 0xfffe
	s_fmamk_f32 s2, s27, 0xcf800000, s2
	s_cvt_u32_f32 s29, s27
	s_wait_alu 0xfffe
	s_delay_alu instid0(SALU_CYCLE_1) | instskip(SKIP_1) | instid1(SALU_CYCLE_2)
	s_cvt_u32_f32 s28, s2
	s_wait_alu 0xfffe
	s_mul_u64 s[34:35], s[30:31], s[28:29]
	s_wait_alu 0xfffe
	s_mul_hi_u32 s37, s28, s35
	s_mul_i32 s36, s28, s35
	s_mul_hi_u32 s2, s28, s34
	s_mul_i32 s33, s29, s34
	s_wait_alu 0xfffe
	s_add_nc_u64 s[36:37], s[2:3], s[36:37]
	s_mul_hi_u32 s27, s29, s34
	s_mul_hi_u32 s38, s29, s35
	s_add_co_u32 s2, s36, s33
	s_wait_alu 0xfffe
	s_add_co_ci_u32 s2, s37, s27
	s_mul_i32 s34, s29, s35
	s_add_co_ci_u32 s35, s38, 0
	s_wait_alu 0xfffe
	s_add_nc_u64 s[34:35], s[2:3], s[34:35]
	s_wait_alu 0xfffe
	v_add_co_u32 v4, s2, s28, s34
	s_delay_alu instid0(VALU_DEP_1) | instskip(SKIP_1) | instid1(VALU_DEP_1)
	s_cmp_lg_u32 s2, 0
	s_add_co_ci_u32 s29, s29, s35
	v_readfirstlane_b32 s28, v4
	s_wait_alu 0xfffe
	s_delay_alu instid0(VALU_DEP_1)
	s_mul_u64 s[30:31], s[30:31], s[28:29]
	s_wait_alu 0xfffe
	s_mul_hi_u32 s35, s28, s31
	s_mul_i32 s34, s28, s31
	s_mul_hi_u32 s2, s28, s30
	s_mul_i32 s33, s29, s30
	s_wait_alu 0xfffe
	s_add_nc_u64 s[34:35], s[2:3], s[34:35]
	s_mul_hi_u32 s27, s29, s30
	s_mul_hi_u32 s28, s29, s31
	s_wait_alu 0xfffe
	s_add_co_u32 s2, s34, s33
	s_add_co_ci_u32 s2, s35, s27
	s_mul_i32 s30, s29, s31
	s_add_co_ci_u32 s31, s28, 0
	s_wait_alu 0xfffe
	s_add_nc_u64 s[30:31], s[2:3], s[30:31]
	s_wait_alu 0xfffe
	v_add_co_u32 v4, s2, v4, s30
	s_delay_alu instid0(VALU_DEP_1) | instskip(SKIP_1) | instid1(VALU_DEP_1)
	s_cmp_lg_u32 s2, 0
	s_add_co_ci_u32 s2, s29, s31
	v_mul_hi_u32 v13, v5, v4
	s_wait_alu 0xfffe
	v_mad_co_u64_u32 v[7:8], null, v5, s2, 0
	v_mad_co_u64_u32 v[9:10], null, v6, v4, 0
	;; [unrolled: 1-line block ×3, first 2 shown]
	s_delay_alu instid0(VALU_DEP_3) | instskip(SKIP_1) | instid1(VALU_DEP_4)
	v_add_co_u32 v4, vcc_lo, v13, v7
	s_wait_alu 0xfffd
	v_add_co_ci_u32_e32 v7, vcc_lo, 0, v8, vcc_lo
	s_delay_alu instid0(VALU_DEP_2) | instskip(SKIP_1) | instid1(VALU_DEP_2)
	v_add_co_u32 v4, vcc_lo, v4, v9
	s_wait_alu 0xfffd
	v_add_co_ci_u32_e32 v4, vcc_lo, v7, v10, vcc_lo
	s_wait_alu 0xfffd
	v_add_co_ci_u32_e32 v7, vcc_lo, 0, v12, vcc_lo
	s_delay_alu instid0(VALU_DEP_2) | instskip(SKIP_1) | instid1(VALU_DEP_2)
	v_add_co_u32 v4, vcc_lo, v4, v11
	s_wait_alu 0xfffd
	v_add_co_ci_u32_e32 v9, vcc_lo, 0, v7, vcc_lo
	s_delay_alu instid0(VALU_DEP_2) | instskip(SKIP_1) | instid1(VALU_DEP_3)
	v_mul_lo_u32 v10, s25, v4
	v_mad_co_u64_u32 v[7:8], null, s24, v4, 0
	v_mul_lo_u32 v11, s24, v9
	s_delay_alu instid0(VALU_DEP_2) | instskip(NEXT) | instid1(VALU_DEP_2)
	v_sub_co_u32 v7, vcc_lo, v5, v7
	v_add3_u32 v8, v8, v11, v10
	s_delay_alu instid0(VALU_DEP_1) | instskip(SKIP_1) | instid1(VALU_DEP_1)
	v_sub_nc_u32_e32 v10, v6, v8
	s_wait_alu 0xfffd
	v_subrev_co_ci_u32_e64 v10, s2, s25, v10, vcc_lo
	v_add_co_u32 v11, s2, v4, 2
	s_wait_alu 0xf1ff
	v_add_co_ci_u32_e64 v12, s2, 0, v9, s2
	v_sub_co_u32 v13, s2, v7, s24
	v_sub_co_ci_u32_e32 v8, vcc_lo, v6, v8, vcc_lo
	s_wait_alu 0xf1ff
	v_subrev_co_ci_u32_e64 v10, s2, 0, v10, s2
	s_delay_alu instid0(VALU_DEP_3) | instskip(NEXT) | instid1(VALU_DEP_3)
	v_cmp_le_u32_e32 vcc_lo, s24, v13
	v_cmp_eq_u32_e64 s2, s25, v8
	s_wait_alu 0xfffd
	v_cndmask_b32_e64 v13, 0, -1, vcc_lo
	v_cmp_le_u32_e32 vcc_lo, s25, v10
	s_wait_alu 0xfffd
	v_cndmask_b32_e64 v14, 0, -1, vcc_lo
	v_cmp_le_u32_e32 vcc_lo, s24, v7
	;; [unrolled: 3-line block ×3, first 2 shown]
	s_wait_alu 0xfffd
	v_cndmask_b32_e64 v15, 0, -1, vcc_lo
	v_cmp_eq_u32_e32 vcc_lo, s25, v10
	s_wait_alu 0xf1ff
	s_delay_alu instid0(VALU_DEP_2)
	v_cndmask_b32_e64 v7, v15, v7, s2
	s_wait_alu 0xfffd
	v_cndmask_b32_e32 v10, v14, v13, vcc_lo
	v_add_co_u32 v13, vcc_lo, v4, 1
	s_wait_alu 0xfffd
	v_add_co_ci_u32_e32 v14, vcc_lo, 0, v9, vcc_lo
	s_delay_alu instid0(VALU_DEP_3) | instskip(SKIP_1) | instid1(VALU_DEP_2)
	v_cmp_ne_u32_e32 vcc_lo, 0, v10
	s_wait_alu 0xfffd
	v_cndmask_b32_e32 v8, v14, v12, vcc_lo
	v_cndmask_b32_e32 v10, v13, v11, vcc_lo
	v_cmp_ne_u32_e32 vcc_lo, 0, v7
	s_wait_alu 0xfffd
	s_delay_alu instid0(VALU_DEP_2)
	v_dual_cndmask_b32 v45, v9, v8 :: v_dual_cndmask_b32 v44, v4, v10
.LBB0_4:                                ;   in Loop: Header=BB0_2 Depth=1
	s_wait_alu 0xfffe
	s_and_not1_saveexec_b32 s2, s26
	s_cbranch_execz .LBB0_6
; %bb.5:                                ;   in Loop: Header=BB0_2 Depth=1
	v_cvt_f32_u32_e32 v4, s24
	s_sub_co_i32 s26, 0, s24
	v_mov_b32_e32 v45, v3
	s_delay_alu instid0(VALU_DEP_2) | instskip(NEXT) | instid1(TRANS32_DEP_1)
	v_rcp_iflag_f32_e32 v4, v4
	v_mul_f32_e32 v4, 0x4f7ffffe, v4
	s_delay_alu instid0(VALU_DEP_1) | instskip(SKIP_1) | instid1(VALU_DEP_1)
	v_cvt_u32_f32_e32 v4, v4
	s_wait_alu 0xfffe
	v_mul_lo_u32 v7, s26, v4
	s_delay_alu instid0(VALU_DEP_1) | instskip(NEXT) | instid1(VALU_DEP_1)
	v_mul_hi_u32 v7, v4, v7
	v_add_nc_u32_e32 v4, v4, v7
	s_delay_alu instid0(VALU_DEP_1) | instskip(NEXT) | instid1(VALU_DEP_1)
	v_mul_hi_u32 v4, v5, v4
	v_mul_lo_u32 v7, v4, s24
	v_add_nc_u32_e32 v8, 1, v4
	s_delay_alu instid0(VALU_DEP_2) | instskip(NEXT) | instid1(VALU_DEP_1)
	v_sub_nc_u32_e32 v7, v5, v7
	v_subrev_nc_u32_e32 v9, s24, v7
	v_cmp_le_u32_e32 vcc_lo, s24, v7
	s_wait_alu 0xfffd
	s_delay_alu instid0(VALU_DEP_2) | instskip(NEXT) | instid1(VALU_DEP_1)
	v_dual_cndmask_b32 v7, v7, v9 :: v_dual_cndmask_b32 v4, v4, v8
	v_cmp_le_u32_e32 vcc_lo, s24, v7
	s_delay_alu instid0(VALU_DEP_2) | instskip(SKIP_1) | instid1(VALU_DEP_1)
	v_add_nc_u32_e32 v8, 1, v4
	s_wait_alu 0xfffd
	v_cndmask_b32_e32 v44, v4, v8, vcc_lo
.LBB0_6:                                ;   in Loop: Header=BB0_2 Depth=1
	s_wait_alu 0xfffe
	s_or_b32 exec_lo, exec_lo, s2
	v_mul_lo_u32 v4, v45, s24
	s_delay_alu instid0(VALU_DEP_2)
	v_mul_lo_u32 v9, v44, s25
	s_load_b64 s[26:27], s[18:19], 0x0
	v_mad_co_u64_u32 v[7:8], null, v44, s24, 0
	s_load_b64 s[24:25], s[16:17], 0x0
	s_add_nc_u64 s[20:21], s[20:21], 1
	s_add_nc_u64 s[16:17], s[16:17], 8
	s_wait_alu 0xfffe
	v_cmp_ge_u64_e64 s2, s[20:21], s[10:11]
	s_add_nc_u64 s[18:19], s[18:19], 8
	s_add_nc_u64 s[22:23], s[22:23], 8
	v_add3_u32 v4, v8, v9, v4
	v_sub_co_u32 v5, vcc_lo, v5, v7
	s_wait_alu 0xfffd
	s_delay_alu instid0(VALU_DEP_2) | instskip(SKIP_2) | instid1(VALU_DEP_1)
	v_sub_co_ci_u32_e32 v4, vcc_lo, v6, v4, vcc_lo
	s_and_b32 vcc_lo, exec_lo, s2
	s_wait_kmcnt 0x0
	v_mul_lo_u32 v6, s26, v4
	v_mul_lo_u32 v7, s27, v5
	v_mad_co_u64_u32 v[1:2], null, s26, v5, v[1:2]
	v_mul_lo_u32 v4, s24, v4
	v_mul_lo_u32 v8, s25, v5
	v_mad_co_u64_u32 v[40:41], null, s24, v5, v[40:41]
	s_delay_alu instid0(VALU_DEP_4) | instskip(NEXT) | instid1(VALU_DEP_2)
	v_add3_u32 v2, v7, v2, v6
	v_add3_u32 v41, v8, v41, v4
	s_wait_alu 0xfffe
	s_cbranch_vccnz .LBB0_9
; %bb.7:                                ;   in Loop: Header=BB0_2 Depth=1
	v_dual_mov_b32 v5, v44 :: v_dual_mov_b32 v6, v45
	s_branch .LBB0_2
.LBB0_8:
	v_dual_mov_b32 v41, v2 :: v_dual_mov_b32 v40, v1
	v_dual_mov_b32 v45, v6 :: v_dual_mov_b32 v44, v5
.LBB0_9:
	s_load_b64 s[0:1], s[0:1], 0x28
	v_mul_hi_u32 v3, 0x253c826, v0
	s_lshl_b64 s[10:11], s[10:11], 3
                                        ; implicit-def: $vgpr42
                                        ; implicit-def: $vgpr46
                                        ; implicit-def: $vgpr49
                                        ; implicit-def: $vgpr48
	s_wait_kmcnt 0x0
	v_cmp_gt_u64_e32 vcc_lo, s[0:1], v[44:45]
	v_cmp_le_u64_e64 s0, s[0:1], v[44:45]
	s_delay_alu instid0(VALU_DEP_1)
	s_and_saveexec_b32 s1, s0
	s_wait_alu 0xfffe
	s_xor_b32 s0, exec_lo, s1
; %bb.10:
	v_mul_u32_u24_e32 v1, 0x6e, v3
                                        ; implicit-def: $vgpr3
	s_delay_alu instid0(VALU_DEP_1) | instskip(NEXT) | instid1(VALU_DEP_1)
	v_sub_nc_u32_e32 v42, v0, v1
                                        ; implicit-def: $vgpr0
                                        ; implicit-def: $vgpr1_vgpr2
	v_add_nc_u32_e32 v46, 0x6e, v42
	v_add_nc_u32_e32 v49, 0xdc, v42
	;; [unrolled: 1-line block ×3, first 2 shown]
; %bb.11:
	s_wait_alu 0xfffe
	s_or_saveexec_b32 s1, s0
	s_add_nc_u64 s[2:3], s[14:15], s[10:11]
	s_wait_alu 0xfffe
	s_xor_b32 exec_lo, exec_lo, s1
	s_cbranch_execz .LBB0_13
; %bb.12:
	s_add_nc_u64 s[10:11], s[12:13], s[10:11]
	v_lshlrev_b64_e32 v[1:2], 3, v[1:2]
	s_load_b64 s[10:11], s[10:11], 0x0
	s_wait_kmcnt 0x0
	v_mul_lo_u32 v6, s11, v44
	v_mul_lo_u32 v7, s10, v45
	v_mad_co_u64_u32 v[4:5], null, s10, v44, 0
	s_delay_alu instid0(VALU_DEP_1) | instskip(SKIP_1) | instid1(VALU_DEP_2)
	v_add3_u32 v5, v5, v7, v6
	v_mul_u32_u24_e32 v6, 0x6e, v3
	v_lshlrev_b64_e32 v[3:4], 3, v[4:5]
	s_delay_alu instid0(VALU_DEP_2) | instskip(NEXT) | instid1(VALU_DEP_1)
	v_sub_nc_u32_e32 v42, v0, v6
	v_lshlrev_b32_e32 v18, 3, v42
	s_delay_alu instid0(VALU_DEP_3) | instskip(SKIP_1) | instid1(VALU_DEP_4)
	v_add_co_u32 v0, s0, s4, v3
	s_wait_alu 0xf1ff
	v_add_co_ci_u32_e64 v3, s0, s5, v4, s0
	v_add_nc_u32_e32 v46, 0x6e, v42
	s_delay_alu instid0(VALU_DEP_3) | instskip(SKIP_1) | instid1(VALU_DEP_3)
	v_add_co_u32 v0, s0, v0, v1
	s_wait_alu 0xf1ff
	v_add_co_ci_u32_e64 v1, s0, v3, v2, s0
	v_add_nc_u32_e32 v49, 0xdc, v42
	s_delay_alu instid0(VALU_DEP_3) | instskip(SKIP_1) | instid1(VALU_DEP_3)
	v_add_co_u32 v0, s0, v0, v18
	s_wait_alu 0xf1ff
	v_add_co_ci_u32_e64 v1, s0, 0, v1, s0
	s_clause 0x8
	global_load_b64 v[2:3], v[0:1], off
	global_load_b64 v[4:5], v[0:1], off offset:880
	global_load_b64 v[6:7], v[0:1], off offset:1760
	;; [unrolled: 1-line block ×8, first 2 shown]
	v_add_nc_u32_e32 v18, 0, v18
	v_add_nc_u32_e32 v48, 0x14a, v42
	s_delay_alu instid0(VALU_DEP_2)
	v_add_nc_u32_e32 v19, 0x400, v18
	v_add_nc_u32_e32 v20, 0xc00, v18
	;; [unrolled: 1-line block ×3, first 2 shown]
	s_wait_loadcnt 0x7
	ds_store_2addr_b64 v18, v[2:3], v[4:5] offset1:110
	s_wait_loadcnt 0x5
	ds_store_2addr_b64 v19, v[6:7], v[8:9] offset0:92 offset1:202
	s_wait_loadcnt 0x3
	ds_store_2addr_b64 v20, v[10:11], v[12:13] offset0:56 offset1:166
	;; [unrolled: 2-line block ×3, first 2 shown]
	s_wait_loadcnt 0x0
	ds_store_b64 v18, v[0:1] offset:7040
.LBB0_13:
	s_or_b32 exec_lo, exec_lo, s1
	v_lshlrev_b32_e32 v43, 3, v42
	s_load_b64 s[2:3], s[2:3], 0x0
	global_wb scope:SCOPE_SE
	s_wait_dscnt 0x0
	s_wait_kmcnt 0x0
	s_barrier_signal -1
	s_barrier_wait -1
	v_add_nc_u32_e32 v52, 0, v43
	global_inv scope:SCOPE_SE
	v_lshl_add_u32 v20, v46, 4, 0
	v_lshl_add_u32 v54, v49, 4, 0
	;; [unrolled: 1-line block ×3, first 2 shown]
	ds_load_2addr_b64 v[5:8], v52 offset1:110
	v_add_nc_u32_e32 v0, 0x800, v52
	v_add_nc_u32_e32 v4, 0x1000, v52
	;; [unrolled: 1-line block ×3, first 2 shown]
	v_cmp_gt_u32_e64 s0, 55, v42
	ds_load_2addr_b64 v[0:3], v0 offset0:184 offset1:239
	s_wait_dscnt 0x0
	v_dual_sub_f32 v2, v5, v2 :: v_dual_add_nc_u32 v13, 0x400, v52
	ds_load_2addr_b64 v[9:12], v4 offset0:93 offset1:203
	ds_load_2addr_b64 v[13:16], v13 offset0:92 offset1:202
	ds_load_2addr_b64 v[21:24], v17 offset0:57 offset1:167
	v_sub_f32_e32 v3, v6, v3
	global_wb scope:SCOPE_SE
	s_wait_dscnt 0x0
	s_barrier_signal -1
	s_barrier_wait -1
	global_inv scope:SCOPE_SE
	v_dual_sub_f32 v9, v7, v9 :: v_dual_sub_f32 v10, v8, v10
	v_dual_sub_f32 v11, v13, v11 :: v_dual_sub_f32 v12, v14, v12
	;; [unrolled: 1-line block ×3, first 2 shown]
	v_add_nc_u32_e32 v19, v52, v43
	v_sub_f32_e32 v4, v0, v23
	v_fma_f32 v21, v5, 2.0, -v2
	v_sub_f32_e32 v5, v1, v24
	v_fma_f32 v22, v6, 2.0, -v3
	v_fma_f32 v6, v7, 2.0, -v9
	;; [unrolled: 1-line block ×7, first 2 shown]
	ds_store_2addr_b64 v19, v[21:22], v[2:3] offset1:1
	ds_store_2addr_b64 v20, v[6:7], v[9:10] offset1:1
	;; [unrolled: 1-line block ×4, first 2 shown]
	s_and_saveexec_b32 s1, s0
	s_cbranch_execz .LBB0_15
; %bb.14:
	v_fma_f32 v1, v1, 2.0, -v5
	v_fma_f32 v0, v0, 2.0, -v4
	v_add3_u32 v2, v52, v43, 0x1b80
	ds_store_2addr_b64 v2, v[0:1], v[4:5] offset1:1
.LBB0_15:
	s_wait_alu 0xfffe
	s_or_b32 exec_lo, exec_lo, s1
	v_and_b32_e32 v27, 1, v42
	v_add_nc_u32_e32 v28, 0x1400, v52
	global_wb scope:SCOPE_SE
	s_wait_dscnt 0x0
	s_barrier_signal -1
	s_barrier_wait -1
	global_inv scope:SCOPE_SE
	ds_load_2addr_b64 v[6:9], v28 offset0:20 offset1:130
	v_lshlrev_b32_e32 v0, 4, v27
	v_lshrrev_b32_e32 v16, 1, v42
	v_lshrrev_b32_e32 v17, 1, v46
	;; [unrolled: 1-line block ×3, first 2 shown]
	ds_load_b64 v[14:15], v52
	global_load_b128 v[0:3], v0, s[8:9]
	v_add_nc_u32_e32 v36, 0xc00, v52
	v_lshlrev_b32_e32 v55, 3, v49
	v_lshlrev_b32_e32 v47, 3, v48
	v_and_b32_e32 v22, 0xff, v42
	v_and_b32_e32 v21, 0xff, v46
	ds_load_2addr_b64 v[10:13], v36 offset0:56 offset1:166
	v_lshlrev_b32_e32 v35, 3, v46
	v_sub_nc_u32_e32 v37, v54, v55
	v_mul_u32_u24_e32 v30, 6, v16
	v_mul_lo_u32 v32, v17, 6
	v_mul_lo_u32 v33, v18, 6
	v_cmp_gt_u32_e64 s1, 0x58, v42
	s_wait_loadcnt_dscnt 0x0
	v_mul_f32_e32 v62, v1, v11
	v_sub_nc_u32_e32 v31, v20, v35
	v_dual_mul_f32 v60, v3, v7 :: v_dual_and_b32 v19, 0xffff, v49
	v_sub_nc_u32_e32 v29, v53, v47
	v_mul_f32_e32 v65, v3, v8
	v_mul_lo_u16 v34, 0xab, v22
	s_delay_alu instid0(VALU_DEP_4)
	v_fmac_f32_e32 v60, v2, v6
	v_mul_u32_u24_e32 v39, 0xaaab, v19
	ds_load_b64 v[16:17], v31
	ds_load_b64 v[18:19], v37
	;; [unrolled: 1-line block ×3, first 2 shown]
	ds_load_b64 v[25:26], v52 offset:7040
	v_mul_f32_e32 v64, v3, v9
	v_mul_lo_u16 v38, 0xab, v21
	v_lshrrev_b16 v34, 10, v34
	v_lshrrev_b32_e32 v39, 18, v39
	v_mul_f32_e32 v61, v3, v6
	v_mul_f32_e32 v63, v1, v10
	v_lshrrev_b16 v38, 10, v38
	v_mul_lo_u16 v50, v34, 6
	v_mul_lo_u16 v56, v39, 6
	v_mul_f32_e32 v66, v1, v13
	v_fma_f32 v6, v2, v7, -v61
	v_mul_lo_u16 v51, v38, 6
	v_sub_nc_u16 v50, v42, v50
	v_fma_f32 v7, v0, v11, -v63
	v_fmac_f32_e32 v64, v2, v8
	v_fma_f32 v8, v2, v9, -v65
	v_sub_nc_u16 v51, v46, v51
	v_and_b32_e32 v50, 0xff, v50
	s_wait_dscnt 0x1
	v_mul_f32_e32 v58, v1, v24
	v_or_b32_e32 v30, v30, v27
	v_or_b32_e32 v32, v32, v27
	;; [unrolled: 1-line block ×3, first 2 shown]
	v_sub_nc_u16 v33, v49, v56
	v_and_b32_e32 v51, 0xff, v51
	v_mul_f32_e32 v59, v1, v23
	v_dual_mul_f32 v1, v1, v12 :: v_dual_lshlrev_b32 v56, 4, v50
	s_wait_dscnt 0x0
	v_dual_mul_f32 v67, v3, v26 :: v_dual_fmac_f32 v66, v0, v12
	v_dual_mul_f32 v3, v3, v25 :: v_dual_fmac_f32 v58, v0, v23
	v_dual_fmac_f32 v62, v0, v10 :: v_dual_and_b32 v33, 0xffff, v33
	v_lshlrev_b32_e32 v57, 4, v51
	v_fma_f32 v23, v0, v24, -v59
	v_fmac_f32_e32 v67, v2, v25
	v_fma_f32 v9, v2, v26, -v3
	v_add_f32_e32 v2, v58, v60
	v_fma_f32 v0, v0, v13, -v1
	v_add_f32_e32 v3, v15, v23
	v_dual_add_f32 v1, v14, v58 :: v_dual_sub_f32 v24, v7, v8
	v_sub_f32_e32 v10, v23, v6
	v_dual_add_f32 v11, v23, v6 :: v_dual_sub_f32 v12, v58, v60
	v_dual_add_f32 v25, v17, v7 :: v_dual_add_f32 v58, v18, v66
	v_add_f32_e32 v59, v66, v67
	v_fma_f32 v14, -0.5, v2, v14
	v_add_f32_e32 v23, v62, v64
	v_add_f32_e32 v7, v7, v8
	v_dual_add_f32 v13, v16, v62 :: v_dual_sub_f32 v26, v62, v64
	v_add_f32_e32 v63, v0, v9
	v_dual_sub_f32 v61, v0, v9 :: v_dual_add_f32 v62, v19, v0
	v_dual_add_f32 v0, v1, v60 :: v_dual_add_f32 v1, v3, v6
	v_fma_f32 v18, -0.5, v59, v18
	v_dual_add_f32 v3, v25, v8 :: v_dual_fmamk_f32 v8, v10, 0xbf5db3d7, v14
	v_fmac_f32_e32 v14, 0x3f5db3d7, v10
	v_fma_f32 v16, -0.5, v23, v16
	v_fmac_f32_e32 v15, -0.5, v11
	v_add_f32_e32 v6, v58, v67
	v_fmac_f32_e32 v17, -0.5, v7
	s_delay_alu instid0(VALU_DEP_4)
	v_dual_sub_f32 v65, v66, v67 :: v_dual_fmamk_f32 v10, v24, 0xbf5db3d7, v16
	v_dual_add_f32 v2, v13, v64 :: v_dual_fmac_f32 v19, -0.5, v63
	v_lshl_add_u32 v30, v30, 3, 0
	v_dual_add_f32 v7, v62, v9 :: v_dual_fmac_f32 v16, 0x3f5db3d7, v24
	v_fmamk_f32 v9, v12, 0x3f5db3d7, v15
	v_fmac_f32_e32 v15, 0xbf5db3d7, v12
	v_lshl_add_u32 v32, v32, 3, 0
	v_fmamk_f32 v12, v61, 0xbf5db3d7, v18
	v_fmamk_f32 v11, v26, 0x3f5db3d7, v17
	v_fmac_f32_e32 v17, 0xbf5db3d7, v26
	v_lshl_add_u32 v27, v27, 3, 0
	v_fmamk_f32 v13, v65, 0x3f5db3d7, v19
	global_wb scope:SCOPE_SE
	s_barrier_signal -1
	s_barrier_wait -1
	global_inv scope:SCOPE_SE
	v_fmac_f32_e32 v18, 0x3f5db3d7, v61
	v_fmac_f32_e32 v19, 0xbf5db3d7, v65
	ds_store_2addr_b64 v30, v[0:1], v[8:9] offset1:2
	ds_store_b64 v30, v[14:15] offset:32
	ds_store_2addr_b64 v32, v[2:3], v[10:11] offset1:2
	ds_store_b64 v32, v[16:17] offset:32
	;; [unrolled: 2-line block ×3, first 2 shown]
	v_lshlrev_b32_e32 v0, 4, v33
	global_wb scope:SCOPE_SE
	s_wait_dscnt 0x0
	s_barrier_signal -1
	s_barrier_wait -1
	global_inv scope:SCOPE_SE
	s_clause 0x2
	global_load_b128 v[6:9], v56, s[8:9] offset:32
	global_load_b128 v[10:13], v57, s[8:9] offset:32
	;; [unrolled: 1-line block ×3, first 2 shown]
	ds_load_b64 v[18:19], v29
	ds_load_2addr_b64 v[23:26], v28 offset0:20 offset1:130
	ds_load_2addr_b64 v[27:30], v36 offset0:56 offset1:166
	v_and_b32_e32 v0, 0xffff, v34
	v_and_b32_e32 v1, 0xffff, v38
	v_mul_u32_u24_e32 v2, 0x90, v39
	v_lshlrev_b32_e32 v39, 3, v50
	v_lshlrev_b32_e32 v50, 3, v51
	v_mul_u32_u24_e32 v3, 0x90, v0
	v_mul_u32_u24_e32 v38, 0x90, v1
	s_delay_alu instid0(VALU_DEP_2) | instskip(NEXT) | instid1(VALU_DEP_2)
	v_add3_u32 v39, 0, v3, v39
	v_add3_u32 v38, 0, v38, v50
	s_wait_loadcnt_dscnt 0x100
	v_mul_f32_e32 v56, v11, v28
	s_wait_loadcnt 0x0
	v_mul_f32_e32 v58, v15, v30
	s_delay_alu instid0(VALU_DEP_2)
	v_dual_fmac_f32 v56, v10, v27 :: v_dual_lshlrev_b32 v51, 3, v33
	ds_load_b64 v[0:1], v31
	ds_load_b64 v[31:32], v52 offset:7040
	ds_load_b64 v[33:34], v52
	v_dual_fmac_f32 v58, v14, v29 :: v_dual_mul_f32 v11, v11, v27
	v_add3_u32 v50, 0, v2, v51
	ds_load_b64 v[2:3], v37
	v_mul_f32_e32 v37, v7, v19
	global_wb scope:SCOPE_SE
	s_wait_dscnt 0x0
	s_barrier_signal -1
	s_barrier_wait -1
	global_inv scope:SCOPE_SE
	v_mul_f32_e32 v59, v32, v17
	s_delay_alu instid0(VALU_DEP_1)
	v_fmac_f32_e32 v59, v31, v16
	v_mul_f32_e32 v57, v13, v26
	v_mul_f32_e32 v51, v9, v24
	;; [unrolled: 1-line block ×3, first 2 shown]
	v_add_f32_e32 v27, v2, v58
	v_fmac_f32_e32 v37, v6, v18
	v_fmac_f32_e32 v57, v12, v25
	v_dual_mul_f32 v7, v7, v18 :: v_dual_add_f32 v18, v0, v56
	v_fmac_f32_e32 v51, v8, v23
	v_mul_f32_e32 v13, v13, v25
	s_delay_alu instid0(VALU_DEP_3) | instskip(SKIP_4) | instid1(VALU_DEP_3)
	v_fma_f32 v6, v6, v19, -v7
	v_fma_f32 v7, v8, v24, -v9
	;; [unrolled: 1-line block ×3, first 2 shown]
	v_add_f32_e32 v28, v58, v59
	v_fma_f32 v9, v12, v26, -v13
	v_dual_add_f32 v19, v56, v57 :: v_dual_add_f32 v24, v1, v8
	s_delay_alu instid0(VALU_DEP_3) | instskip(SKIP_1) | instid1(VALU_DEP_4)
	v_fma_f32 v2, -0.5, v28, v2
	v_mul_f32_e32 v17, v31, v17
	v_sub_f32_e32 v23, v8, v9
	s_delay_alu instid0(VALU_DEP_4) | instskip(SKIP_4) | instid1(VALU_DEP_4)
	v_fma_f32 v0, -0.5, v19, v0
	v_mul_f32_e32 v15, v15, v29
	v_add_f32_e32 v25, v8, v9
	v_fma_f32 v11, v32, v16, -v17
	v_dual_add_f32 v16, v6, v7 :: v_dual_add_f32 v9, v24, v9
	v_fma_f32 v10, v14, v30, -v15
	v_add_f32_e32 v14, v34, v6
	s_delay_alu instid0(VALU_DEP_3)
	v_dual_sub_f32 v15, v6, v7 :: v_dual_fmac_f32 v34, -0.5, v16
	v_fmamk_f32 v16, v23, 0xbf5db3d7, v0
	v_fmac_f32_e32 v0, 0x3f5db3d7, v23
	v_sub_nc_u32_e32 v23, 0, v35
	v_dual_sub_f32 v26, v56, v57 :: v_dual_sub_f32 v29, v10, v11
	v_dual_add_f32 v30, v3, v10 :: v_dual_add_f32 v31, v10, v11
	v_add_f32_e32 v8, v18, v57
	s_delay_alu instid0(VALU_DEP_4)
	v_add_nc_u32_e32 v56, v20, v23
	v_add_f32_e32 v10, v27, v59
	v_add_f32_e32 v12, v33, v37
	;; [unrolled: 1-line block ×3, first 2 shown]
	v_sub_f32_e32 v17, v37, v51
	v_fmac_f32_e32 v1, -0.5, v25
	v_add_f32_e32 v7, v14, v7
	v_add_f32_e32 v6, v12, v51
	v_fmamk_f32 v12, v29, 0xbf5db3d7, v2
	v_fmac_f32_e32 v2, 0x3f5db3d7, v29
	v_fma_f32 v33, -0.5, v13, v33
	v_fmac_f32_e32 v3, -0.5, v31
	s_delay_alu instid0(VALU_DEP_2)
	v_dual_add_f32 v11, v30, v11 :: v_dual_fmamk_f32 v14, v15, 0xbf5db3d7, v33
	v_fmac_f32_e32 v33, 0x3f5db3d7, v15
	v_fmamk_f32 v15, v17, 0x3f5db3d7, v34
	v_fmac_f32_e32 v34, 0xbf5db3d7, v17
	v_sub_f32_e32 v32, v58, v59
	v_fmamk_f32 v17, v26, 0x3f5db3d7, v1
	v_fmac_f32_e32 v1, 0xbf5db3d7, v26
	s_delay_alu instid0(VALU_DEP_3)
	v_fmamk_f32 v13, v32, 0x3f5db3d7, v3
	v_fmac_f32_e32 v3, 0xbf5db3d7, v32
	ds_store_2addr_b64 v39, v[6:7], v[14:15] offset1:6
	ds_store_b64 v39, v[33:34] offset:96
	ds_store_2addr_b64 v38, v[8:9], v[16:17] offset1:6
	ds_store_b64 v38, v[0:1] offset:96
	;; [unrolled: 2-line block ×3, first 2 shown]
	global_wb scope:SCOPE_SE
	s_wait_dscnt 0x0
	s_barrier_signal -1
	s_barrier_wait -1
	global_inv scope:SCOPE_SE
	ds_load_2addr_b64 v[6:9], v52 offset1:198
	ds_load_2addr_b64 v[14:17], v36 offset0:12 offset1:210
	ds_load_b64 v[18:19], v52 offset:6336
	s_and_saveexec_b32 s4, s1
	s_cbranch_execz .LBB0_17
; %bb.16:
	v_add_nc_u32_e32 v2, 0x800, v52
	v_add_nc_u32_e32 v3, 0x1600, v52
	ds_load_b64 v[0:1], v56
	ds_load_2addr_b64 v[10:13], v2 offset0:52 offset1:250
	ds_load_2addr_b64 v[2:5], v3 offset1:198
.LBB0_17:
	s_wait_alu 0xfffe
	s_or_b32 exec_lo, exec_lo, s4
	v_mul_lo_u16 v20, v22, 57
	s_delay_alu instid0(VALU_DEP_1) | instskip(SKIP_1) | instid1(VALU_DEP_2)
	v_lshrrev_b16 v38, 10, v20
	v_mul_lo_u16 v20, v21, 57
	v_mul_lo_u16 v21, v38, 18
	s_delay_alu instid0(VALU_DEP_2) | instskip(SKIP_1) | instid1(VALU_DEP_3)
	v_lshrrev_b16 v20, 10, v20
	v_and_b32_e32 v38, 0xffff, v38
	v_sub_nc_u16 v21, v42, v21
	s_delay_alu instid0(VALU_DEP_3) | instskip(NEXT) | instid1(VALU_DEP_3)
	v_mul_lo_u16 v22, v20, 18
	v_mul_u32_u24_e32 v38, 0x2d0, v38
	s_delay_alu instid0(VALU_DEP_3) | instskip(NEXT) | instid1(VALU_DEP_3)
	v_and_b32_e32 v39, 0xff, v21
	v_sub_nc_u16 v21, v46, v22
	s_delay_alu instid0(VALU_DEP_2) | instskip(NEXT) | instid1(VALU_DEP_2)
	v_lshlrev_b32_e32 v26, 5, v39
	v_and_b32_e32 v21, 0xff, v21
	global_load_b128 v[22:25], v26, s[8:9] offset:128
	v_lshlrev_b32_e32 v34, 5, v21
	s_wait_loadcnt_dscnt 0x1
	v_mul_f32_e32 v50, v25, v15
	s_delay_alu instid0(VALU_DEP_1) | instskip(NEXT) | instid1(VALU_DEP_1)
	v_dual_fmac_f32 v50, v24, v14 :: v_dual_lshlrev_b32 v39, 3, v39
	v_add3_u32 v38, 0, v38, v39
	v_mul_f32_e32 v39, v23, v9
	v_mul_f32_e32 v23, v23, v8
	s_clause 0x2
	global_load_b128 v[26:29], v26, s[8:9] offset:144
	global_load_b128 v[30:33], v34, s[8:9] offset:128
	;; [unrolled: 1-line block ×3, first 2 shown]
	v_mul_f32_e32 v25, v25, v14
	global_wb scope:SCOPE_SE
	s_wait_loadcnt_dscnt 0x0
	v_fmac_f32_e32 v39, v22, v8
	v_fma_f32 v8, v22, v9, -v23
	s_barrier_signal -1
	s_barrier_wait -1
	global_inv scope:SCOPE_SE
	v_mul_f32_e32 v51, v27, v17
	v_mul_f32_e32 v58, v11, v31
	;; [unrolled: 1-line block ×6, first 2 shown]
	v_fma_f32 v9, v24, v15, -v25
	v_fmac_f32_e32 v60, v2, v34
	v_fmac_f32_e32 v57, v28, v18
	;; [unrolled: 1-line block ×3, first 2 shown]
	v_mul_f32_e32 v35, v2, v35
	v_fmac_f32_e32 v58, v10, v30
	v_fma_f32 v16, v26, v17, -v27
	v_mul_f32_e32 v31, v10, v31
	v_add_f32_e32 v2, v6, v39
	v_fma_f32 v22, v28, v19, -v29
	v_mul_f32_e32 v61, v5, v37
	v_sub_f32_e32 v28, v8, v9
	v_mul_f32_e32 v59, v13, v33
	v_sub_f32_e32 v26, v39, v57
	v_mul_f32_e32 v33, v12, v33
	v_dual_mul_f32 v37, v4, v37 :: v_dual_sub_f32 v24, v9, v16
	v_fma_f32 v10, v11, v30, -v31
	v_sub_f32_e32 v18, v51, v57
	v_fma_f32 v17, v3, v34, -v35
	v_add_f32_e32 v30, v8, v22
	v_dual_fmac_f32 v61, v4, v36 :: v_dual_sub_f32 v4, v39, v50
	v_dual_fmac_f32 v59, v12, v32 :: v_dual_sub_f32 v12, v57, v51
	v_fma_f32 v11, v13, v32, -v33
	v_dual_add_f32 v3, v50, v51 :: v_dual_sub_f32 v32, v16, v22
	v_add_f32_e32 v25, v9, v16
	s_delay_alu instid0(VALU_DEP_4) | instskip(NEXT) | instid1(VALU_DEP_4)
	v_dual_sub_f32 v27, v50, v51 :: v_dual_add_f32 v72, v4, v12
	v_add_f32_e32 v66, v11, v17
	v_add_f32_e32 v62, v58, v61
	;; [unrolled: 1-line block ×3, first 2 shown]
	v_fma_f32 v23, v5, v36, -v37
	v_dual_sub_f32 v15, v50, v39 :: v_dual_sub_f32 v64, v60, v61
	v_add_f32_e32 v19, v7, v8
	v_dual_sub_f32 v31, v9, v8 :: v_dual_add_f32 v50, v2, v50
	v_dual_add_f32 v33, v0, v58 :: v_dual_sub_f32 v36, v11, v17
	v_dual_add_f32 v13, v39, v57 :: v_dual_sub_f32 v68, v10, v11
	v_add_f32_e32 v70, v10, v23
	v_dual_sub_f32 v29, v22, v16 :: v_dual_add_f32 v4, v19, v9
	v_sub_f32_e32 v5, v8, v22
	v_sub_f32_e32 v35, v10, v23
	v_add_f32_e32 v65, v1, v10
	v_sub_f32_e32 v10, v11, v10
	v_fma_f32 v8, -0.5, v3, v6
	v_fma_f32 v14, -0.5, v13, v6
	v_add_f32_e32 v73, v15, v18
	v_fma_f32 v9, -0.5, v25, v7
	v_dual_add_f32 v25, v28, v29 :: v_dual_add_f32 v28, v31, v32
	v_dual_sub_f32 v63, v59, v58 :: v_dual_add_f32 v18, v33, v59
	v_sub_f32_e32 v37, v58, v59
	v_dual_sub_f32 v58, v58, v61 :: v_dual_sub_f32 v71, v17, v23
	v_dual_sub_f32 v67, v59, v60 :: v_dual_fmamk_f32 v6, v5, 0xbf737871, v8
	v_dual_sub_f32 v69, v23, v17 :: v_dual_fmamk_f32 v12, v24, 0x3f737871, v14
	v_fma_f32 v15, -0.5, v30, v7
	v_fma_f32 v2, -0.5, v34, v0
	v_fmac_f32_e32 v0, -0.5, v62
	v_fma_f32 v3, -0.5, v66, v1
	v_dual_fmac_f32 v1, -0.5, v70 :: v_dual_fmac_f32 v8, 0x3f737871, v5
	v_dual_sub_f32 v39, v61, v60 :: v_dual_add_f32 v32, v10, v71
	v_add_f32_e32 v10, v50, v51
	v_dual_add_f32 v11, v65, v11 :: v_dual_add_f32 v30, v63, v64
	s_delay_alu instid0(VALU_DEP_3) | instskip(SKIP_1) | instid1(VALU_DEP_4)
	v_add_f32_e32 v29, v37, v39
	v_dual_add_f32 v31, v68, v69 :: v_dual_fmac_f32 v14, 0xbf737871, v24
	v_dual_add_f32 v33, v4, v16 :: v_dual_add_f32 v4, v10, v57
	v_fmamk_f32 v7, v26, 0x3f737871, v9
	v_fmamk_f32 v13, v27, 0xbf737871, v15
	v_dual_fmac_f32 v15, 0x3f737871, v27 :: v_dual_add_f32 v34, v18, v60
	v_dual_fmac_f32 v9, 0xbf737871, v26 :: v_dual_fmamk_f32 v16, v35, 0xbf737871, v2
	v_fmac_f32_e32 v2, 0x3f737871, v35
	v_fmamk_f32 v18, v36, 0x3f737871, v0
	s_delay_alu instid0(VALU_DEP_4)
	v_add_f32_e32 v10, v34, v61
	v_dual_fmac_f32 v0, 0xbf737871, v36 :: v_dual_add_f32 v11, v11, v17
	v_fmac_f32_e32 v6, 0xbf167918, v24
	v_fmamk_f32 v17, v58, 0x3f737871, v3
	v_fmac_f32_e32 v3, 0xbf737871, v58
	v_fmamk_f32 v19, v67, 0xbf737871, v1
	v_fmac_f32_e32 v1, 0x3f737871, v67
	v_fmac_f32_e32 v8, 0x3f167918, v24
	v_dual_fmac_f32 v12, 0xbf167918, v5 :: v_dual_fmac_f32 v9, 0xbf167918, v27
	v_dual_fmac_f32 v14, 0x3f167918, v5 :: v_dual_fmac_f32 v7, 0x3f167918, v27
	;; [unrolled: 1-line block ×6, first 2 shown]
	v_fmac_f32_e32 v17, 0x3f167918, v67
	v_fmac_f32_e32 v3, 0xbf167918, v67
	v_add_f32_e32 v5, v33, v22
	v_dual_add_f32 v11, v11, v23 :: v_dual_fmac_f32 v6, 0x3e9e377a, v72
	v_dual_fmac_f32 v8, 0x3e9e377a, v72 :: v_dual_fmac_f32 v7, 0x3e9e377a, v25
	v_dual_fmac_f32 v12, 0x3e9e377a, v73 :: v_dual_fmac_f32 v13, 0x3e9e377a, v28
	v_dual_fmac_f32 v14, 0x3e9e377a, v73 :: v_dual_fmac_f32 v15, 0x3e9e377a, v28
	v_dual_fmac_f32 v9, 0x3e9e377a, v25 :: v_dual_fmac_f32 v18, 0x3e9e377a, v30
	v_dual_fmac_f32 v16, 0x3e9e377a, v29 :: v_dual_fmac_f32 v17, 0x3e9e377a, v31
	v_dual_fmac_f32 v2, 0x3e9e377a, v29 :: v_dual_fmac_f32 v3, 0x3e9e377a, v31
	v_dual_fmac_f32 v0, 0x3e9e377a, v30 :: v_dual_fmac_f32 v19, 0x3e9e377a, v32
	v_fmac_f32_e32 v1, 0x3e9e377a, v32
	ds_store_2addr_b64 v38, v[4:5], v[6:7] offset1:18
	ds_store_2addr_b64 v38, v[12:13], v[14:15] offset0:36 offset1:54
	ds_store_b64 v38, v[8:9] offset:576
	s_and_saveexec_b32 s4, s1
	s_cbranch_execz .LBB0_19
; %bb.18:
	v_and_b32_e32 v20, 0xffff, v20
	v_lshlrev_b32_e32 v21, 3, v21
	s_delay_alu instid0(VALU_DEP_2) | instskip(NEXT) | instid1(VALU_DEP_1)
	v_mul_u32_u24_e32 v20, 0x2d0, v20
	v_add3_u32 v20, 0, v20, v21
	ds_store_2addr_b64 v20, v[10:11], v[16:17] offset1:18
	ds_store_2addr_b64 v20, v[18:19], v[0:1] offset0:36 offset1:54
	ds_store_b64 v20, v[2:3] offset:576
.LBB0_19:
	s_wait_alu 0xfffe
	s_or_b32 exec_lo, exec_lo, s4
	v_cmp_gt_u32_e64 s1, 0x5a, v42
	global_wb scope:SCOPE_SE
	s_wait_dscnt 0x0
	s_barrier_signal -1
	s_barrier_wait -1
	global_inv scope:SCOPE_SE
                                        ; implicit-def: $vgpr51
	s_and_saveexec_b32 s4, s1
	s_cbranch_execz .LBB0_21
; %bb.20:
	v_add_nc_u32_e32 v0, 0x400, v52
	v_add_nc_u32_e32 v1, 0x800, v52
	;; [unrolled: 1-line block ×4, first 2 shown]
	ds_load_2addr_b64 v[4:7], v52 offset1:90
	ds_load_2addr_b64 v[12:15], v0 offset0:52 offset1:142
	ds_load_2addr_b64 v[8:11], v1 offset0:104 offset1:194
	;; [unrolled: 1-line block ×4, first 2 shown]
	ds_load_b64 v[50:51], v52 offset:7200
.LBB0_21:
	s_wait_alu 0xfffe
	s_or_b32 exec_lo, exec_lo, s4
	global_wb scope:SCOPE_SE
	s_wait_dscnt 0x0
	s_barrier_signal -1
	s_barrier_wait -1
	global_inv scope:SCOPE_SE
	s_and_saveexec_b32 s4, s1
	s_cbranch_execz .LBB0_23
; %bb.22:
	v_dual_mov_b32 v21, 0 :: v_dual_add_nc_u32 v20, 0xffffffa6, v42
	s_delay_alu instid0(VALU_DEP_1) | instskip(NEXT) | instid1(VALU_DEP_1)
	v_cndmask_b32_e64 v20, v20, v42, s1
	v_mul_i32_i24_e32 v20, 10, v20
	s_delay_alu instid0(VALU_DEP_1) | instskip(NEXT) | instid1(VALU_DEP_1)
	v_lshlrev_b64_e32 v[20:21], 3, v[20:21]
	v_add_co_u32 v20, s1, s8, v20
	s_wait_alu 0xf1ff
	s_delay_alu instid0(VALU_DEP_2)
	v_add_co_ci_u32_e64 v21, s1, s9, v21, s1
	s_clause 0x4
	global_load_b128 v[32:35], v[20:21], off offset:704
	global_load_b128 v[36:39], v[20:21], off offset:768
	;; [unrolled: 1-line block ×5, first 2 shown]
	v_add_nc_u32_e32 v57, 0x400, v52
	v_add_nc_u32_e32 v58, 0x800, v52
	v_add_nc_u32_e32 v59, 0x1000, v52
	s_wait_loadcnt 0x4
	v_dual_mul_f32 v61, v7, v33 :: v_dual_add_nc_u32 v60, 0x1400, v52
	s_wait_loadcnt 0x3
	v_mul_f32_e32 v62, v51, v39
	v_mul_f32_e32 v39, v50, v39
	s_wait_loadcnt 0x1
	v_dual_mul_f32 v33, v6, v33 :: v_dual_mul_f32 v66, v1, v31
	v_dual_mul_f32 v63, v13, v35 :: v_dual_mul_f32 v68, v19, v29
	v_mul_f32_e32 v64, v3, v37
	s_wait_loadcnt 0x0
	v_dual_mul_f32 v37, v2, v37 :: v_dual_mul_f32 v70, v17, v23
	v_dual_mul_f32 v35, v12, v35 :: v_dual_fmac_f32 v62, v50, v38
	s_delay_alu instid0(VALU_DEP_3) | instskip(NEXT) | instid1(VALU_DEP_3)
	v_dual_mul_f32 v65, v15, v25 :: v_dual_fmac_f32 v64, v2, v36
	v_dual_mul_f32 v67, v9, v27 :: v_dual_fmac_f32 v70, v16, v22
	;; [unrolled: 1-line block ×4, first 2 shown]
	v_fma_f32 v38, v51, v38, -v39
	v_fma_f32 v2, v13, v34, -v35
	v_fmac_f32_e32 v65, v14, v24
	v_fmac_f32_e32 v61, v6, v32
	v_fma_f32 v6, v7, v32, -v33
	v_mul_f32_e32 v27, v8, v27
	v_fma_f32 v32, v3, v36, -v37
	v_mul_f32_e32 v69, v11, v21
	v_fmac_f32_e32 v67, v8, v26
	v_mul_f32_e32 v29, v18, v29
	v_fmac_f32_e32 v63, v12, v34
	v_fma_f32 v14, v1, v30, -v31
	v_fma_f32 v0, v15, v24, -v25
	v_add_f32_e32 v12, v2, v32
	v_dual_add_f32 v24, v65, v66 :: v_dual_mul_f32 v21, v10, v21
	v_fmac_f32_e32 v69, v10, v20
	v_add_f32_e32 v10, v6, v38
	v_fma_f32 v3, v9, v26, -v27
	v_add_f32_e32 v26, v4, v61
	s_delay_alu instid0(VALU_DEP_4) | instskip(SKIP_3) | instid1(VALU_DEP_4)
	v_dual_mul_f32 v23, v16, v23 :: v_dual_sub_f32 v18, v69, v70
	v_sub_f32_e32 v16, v67, v68
	v_fma_f32 v1, v19, v28, -v29
	v_fma_f32 v8, v11, v20, -v21
	v_fma_f32 v7, v17, v22, -v23
	v_dual_sub_f32 v21, v6, v38 :: v_dual_mul_f32 v76, 0xbe11bafb, v12
	s_delay_alu instid0(VALU_DEP_4)
	v_dual_add_f32 v17, v3, v1 :: v_dual_mul_f32 v36, 0xbf4178ce, v18
	v_add_f32_e32 v6, v5, v6
	v_sub_f32_e32 v13, v65, v66
	v_sub_f32_e32 v9, v61, v62
	v_dual_add_f32 v19, v8, v7 :: v_dual_mul_f32 v72, 0xbf7d64f0, v18
	v_dual_add_f32 v20, v61, v62 :: v_dual_sub_f32 v23, v2, v32
	v_dual_mul_f32 v78, 0xbf75a155, v17 :: v_dual_add_f32 v15, v0, v14
	v_dual_sub_f32 v25, v0, v14 :: v_dual_mul_f32 v80, 0xbf4178ce, v21
	v_dual_sub_f32 v27, v3, v1 :: v_dual_mul_f32 v82, 0x3ed4b147, v10
	v_add_f32_e32 v28, v67, v68
	v_dual_sub_f32 v11, v63, v64 :: v_dual_add_f32 v30, v69, v70
	v_mul_f32_e32 v34, 0x3f68dda4, v13
	v_dual_mul_f32 v31, 0xbf7d64f0, v9 :: v_dual_add_f32 v2, v6, v2
	v_mul_f32_e32 v50, 0xbe903f40, v9
	v_dual_mul_f32 v61, 0xbf4178ce, v13 :: v_dual_mul_f32 v88, 0xbf4178ce, v23
	v_dual_mul_f32 v75, 0xbf27a4f4, v10 :: v_dual_mul_f32 v92, 0xbf27a4f4, v17
	v_dual_add_f32 v22, v63, v64 :: v_dual_sub_f32 v29, v8, v7
	v_mul_f32_e32 v90, 0x3ed4b147, v12
	v_dual_mul_f32 v33, 0x3e903f40, v11 :: v_dual_add_f32 v0, v2, v0
	v_dual_mul_f32 v35, 0xbf0a6770, v16 :: v_dual_add_f32 v6, v26, v63
	s_delay_alu instid0(VALU_DEP_4)
	v_dual_mul_f32 v71, 0x3f68dda4, v16 :: v_dual_mul_f32 v102, 0x3f68dda4, v29
	v_dual_mul_f32 v73, 0xbe903f40, v21 :: v_dual_mul_f32 v98, 0xbe903f40, v27
	v_mul_f32_e32 v74, 0x3f0a6770, v23
	v_mul_f32_e32 v77, 0x3f575c64, v15
	;; [unrolled: 1-line block ×3, first 2 shown]
	v_dual_mul_f32 v79, 0x3ed4b147, v19 :: v_dual_fmamk_f32 v106, v15, 0x3ed4b147, v34
	v_dual_mul_f32 v84, 0xbf75a155, v15 :: v_dual_fmamk_f32 v105, v12, 0xbf75a155, v33
	;; [unrolled: 1-line block ×3, first 2 shown]
	v_mul_f32_e32 v37, 0xbf7d64f0, v21
	v_mul_f32_e32 v87, 0xbf68dda4, v21
	v_mul_f32_e32 v63, 0x3f68dda4, v25
	v_dual_fmamk_f32 v113, v15, 0xbf27a4f4, v61 :: v_dual_fmamk_f32 v2, v22, 0xbf27a4f4, v88
	v_fma_f32 v61, 0xbf27a4f4, v15, -v61
	v_fmamk_f32 v118, v9, 0x3f4178ce, v75
	v_mul_f32_e32 v99, 0x3f7d64f0, v27
	v_mul_f32_e32 v91, 0xbe11bafb, v15
	v_fma_f32 v15, 0x3ed4b147, v15, -v34
	v_fmamk_f32 v34, v9, 0x3f68dda4, v82
	v_fmamk_f32 v111, v10, 0xbf75a155, v50
	v_fma_f32 v50, 0xbf75a155, v10, -v50
	v_dual_mul_f32 v39, 0x3e903f40, v23 :: v_dual_add_f32 v6, v6, v65
	v_mul_f32_e32 v81, 0x3f7d64f0, v23
	v_dual_mul_f32 v83, 0xbf27a4f4, v12 :: v_dual_fmamk_f32 v108, v19, 0xbf27a4f4, v36
	v_dual_mul_f32 v86, 0x3f575c64, v19 :: v_dual_mul_f32 v89, 0x3f575c64, v10
	v_dual_mul_f32 v21, 0xbf0a6770, v21 :: v_dual_mul_f32 v96, 0xbf0a6770, v27
	v_dual_mul_f32 v23, 0xbf68dda4, v23 :: v_dual_fmac_f32 v82, 0xbf68dda4, v9
	v_mul_f32_e32 v26, 0xbf4178ce, v25
	s_delay_alu instid0(VALU_DEP_4)
	v_dual_mul_f32 v94, 0xbf0a6770, v25 :: v_dual_fmamk_f32 v125, v18, 0xbf0a6770, v86
	v_mul_f32_e32 v95, 0x3e903f40, v25
	v_dual_mul_f32 v25, 0xbf7d64f0, v25 :: v_dual_add_f32 v50, v5, v50
	v_fmamk_f32 v107, v17, 0x3f575c64, v35
	v_dual_fmamk_f32 v114, v17, 0x3ed4b147, v71 :: v_dual_fmamk_f32 v135, v30, 0x3ed4b147, v102
	v_fma_f32 v116, 0xbf75a155, v20, -v73
	v_fma_f32 v71, 0x3ed4b147, v17, -v71
	v_dual_fmac_f32 v73, 0xbf75a155, v20 :: v_dual_add_f32 v82, v5, v82
	v_fmamk_f32 v120, v13, 0x3f0a6770, v77
	v_fmamk_f32 v112, v12, 0x3f575c64, v51
	v_fma_f32 v51, 0x3f575c64, v12, -v51
	v_fma_f32 v10, 0xbe11bafb, v10, -v31
	v_fma_f32 v17, 0x3f575c64, v17, -v35
	v_fmamk_f32 v124, v16, 0xbf7d64f0, v85
	v_fma_f32 v109, 0xbe11bafb, v20, -v37
	v_dual_fmac_f32 v37, 0xbe11bafb, v20 :: v_dual_add_f32 v0, v0, v3
	v_fmamk_f32 v65, v11, 0x3f68dda4, v90
	v_fmac_f32_e32 v90, 0xbf68dda4, v11
	v_dual_fmamk_f32 v35, v20, 0x3ed4b147, v87 :: v_dual_add_f32 v50, v51, v50
	v_dual_mul_f32 v93, 0xbf75a155, v19 :: v_dual_fmamk_f32 v128, v24, 0xbf75a155, v95
	v_mul_f32_e32 v97, 0x3f68dda4, v27
	v_dual_mul_f32 v27, 0xbf4178ce, v27 :: v_dual_mul_f32 v100, 0xbf4178ce, v29
	v_dual_mul_f32 v101, 0xbf7d64f0, v29 :: v_dual_add_f32 v10, v5, v10
	v_mul_f32_e32 v103, 0x3f0a6770, v29
	v_mul_f32_e32 v29, 0xbe903f40, v29
	v_fma_f32 v110, 0xbf75a155, v22, -v39
	v_fmamk_f32 v115, v19, 0xbe11bafb, v72
	v_fma_f32 v117, 0x3f575c64, v22, -v74
	v_fma_f32 v72, 0xbe11bafb, v19, -v72
	v_fmac_f32_e32 v74, 0x3f575c64, v22
	v_fma_f32 v12, 0xbf75a155, v12, -v33
	v_fmamk_f32 v33, v20, 0xbf27a4f4, v80
	v_fma_f32 v19, 0xbf27a4f4, v19, -v36
	v_fmamk_f32 v36, v9, 0x3f0a6770, v89
	v_fmac_f32_e32 v75, 0xbf4178ce, v9
	v_dual_fmac_f32 v89, 0xbf0a6770, v9 :: v_dual_add_f32 v10, v12, v10
	v_fmamk_f32 v9, v20, 0x3f575c64, v21
	v_fma_f32 v80, 0xbf27a4f4, v20, -v80
	v_fma_f32 v87, 0x3ed4b147, v20, -v87
	v_fma_f32 v20, 0x3f575c64, v20, -v21
	v_dual_fmac_f32 v86, 0x3f0a6770, v18 :: v_dual_add_f32 v73, v4, v73
	v_fma_f32 v126, 0x3ed4b147, v24, -v63
	v_dual_fmac_f32 v63, 0x3ed4b147, v24 :: v_dual_add_f32 v34, v5, v34
	v_fmamk_f32 v122, v11, 0x3f4178ce, v83
	v_fmac_f32_e32 v83, 0xbf4178ce, v11
	v_add_f32_e32 v35, v4, v35
	v_dual_fmamk_f32 v119, v11, 0xbf7d64f0, v76 :: v_dual_add_f32 v80, v4, v80
	v_fmamk_f32 v121, v16, 0x3e903f40, v78
	v_fmamk_f32 v31, v18, 0xbf68dda4, v79
	;; [unrolled: 1-line block ×3, first 2 shown]
	v_dual_fmac_f32 v39, 0xbf75a155, v22 :: v_dual_add_f32 v2, v2, v35
	v_fmac_f32_e32 v78, 0xbe903f40, v16
	v_fma_f32 v81, 0xbe11bafb, v22, -v81
	v_fmac_f32_e32 v79, 0x3f68dda4, v18
	v_fma_f32 v88, 0xbf27a4f4, v22, -v88
	v_dual_fmamk_f32 v127, v24, 0x3f575c64, v94 :: v_dual_fmamk_f32 v136, v30, 0x3f575c64, v103
	v_fma_f32 v94, 0x3f575c64, v24, -v94
	v_fmamk_f32 v129, v24, 0xbe11bafb, v25
	v_fma_f32 v130, 0x3f575c64, v28, -v96
	v_fmac_f32_e32 v96, 0x3f575c64, v28
	v_fmamk_f32 v131, v28, 0xbf75a155, v98
	v_fma_f32 v98, 0xbf75a155, v28, -v98
	v_fmamk_f32 v132, v28, 0xbe11bafb, v99
	v_dual_fmac_f32 v76, 0x3f7d64f0, v11 :: v_dual_fmamk_f32 v11, v13, 0x3f7d64f0, v91
	v_fmac_f32_e32 v91, 0xbf7d64f0, v13
	v_fma_f32 v99, 0xbe11bafb, v28, -v99
	v_fmamk_f32 v133, v28, 0xbf27a4f4, v27
	v_fma_f32 v27, 0xbf27a4f4, v28, -v27
	v_fma_f32 v134, 0xbf27a4f4, v30, -v100
	v_dual_fmac_f32 v100, 0xbf27a4f4, v30 :: v_dual_add_f32 v37, v4, v37
	v_fmamk_f32 v123, v13, 0xbe903f40, v84
	v_fmac_f32_e32 v84, 0x3e903f40, v13
	v_fma_f32 v102, 0x3ed4b147, v30, -v102
	v_fma_f32 v103, 0x3f575c64, v30, -v103
	v_dual_fmamk_f32 v137, v30, 0xbf75a155, v29 :: v_dual_add_f32 v10, v15, v10
	v_fma_f32 v29, 0xbf75a155, v30, -v29
	v_dual_add_f32 v33, v4, v33 :: v_dual_add_f32 v36, v5, v36
	v_add_f32_e32 v9, v4, v9
	v_add_f32_e32 v87, v4, v87
	v_fmac_f32_e32 v85, 0x3f7d64f0, v16
	v_dual_add_f32 v0, v0, v8 :: v_dual_fmac_f32 v77, 0xbf0a6770, v13
	v_fmamk_f32 v13, v16, 0x3f4178ce, v92
	v_fmac_f32_e32 v92, 0xbf4178ce, v16
	v_fmamk_f32 v16, v18, 0x3e903f40, v93
	v_fmac_f32_e32 v93, 0xbe903f40, v18
	v_fmamk_f32 v18, v22, 0x3ed4b147, v23
	v_fma_f32 v22, 0x3ed4b147, v22, -v23
	v_fma_f32 v23, 0xbf27a4f4, v24, -v26
	v_fmac_f32_e32 v26, 0xbf27a4f4, v24
	v_fma_f32 v95, 0xbf75a155, v24, -v95
	v_fma_f32 v24, 0xbe11bafb, v24, -v25
	;; [unrolled: 1-line block ×3, first 2 shown]
	v_fmac_f32_e32 v97, 0x3ed4b147, v28
	v_fma_f32 v28, 0xbe11bafb, v30, -v101
	v_add_f32_e32 v35, v83, v82
	v_add_f32_e32 v51, v74, v73
	v_dual_fmac_f32 v101, 0xbe11bafb, v30 :: v_dual_add_f32 v30, v5, v104
	v_dual_add_f32 v104, v4, v109 :: v_dual_add_f32 v109, v5, v111
	v_add_f32_e32 v111, v4, v116
	v_add_f32_e32 v4, v4, v20
	;; [unrolled: 1-line block ×4, first 2 shown]
	v_dual_add_f32 v75, v5, v75 :: v_dual_add_f32 v2, v128, v2
	s_delay_alu instid0(VALU_DEP_4) | instskip(SKIP_3) | instid1(VALU_DEP_4)
	v_add_f32_e32 v4, v22, v4
	v_dual_add_f32 v3, v6, v67 :: v_dual_add_f32 v6, v105, v30
	v_add_f32_e32 v20, v110, v104
	v_add_f32_e32 v30, v112, v109
	v_dual_add_f32 v4, v24, v4 :: v_dual_add_f32 v9, v18, v9
	v_add_f32_e32 v10, v17, v10
	v_add_f32_e32 v6, v106, v6
	;; [unrolled: 1-line block ×3, first 2 shown]
	v_dual_add_f32 v3, v3, v69 :: v_dual_add_f32 v8, v76, v75
	v_add_f32_e32 v18, v81, v80
	v_add_f32_e32 v20, v126, v20
	s_delay_alu instid0(VALU_DEP_4) | instskip(SKIP_4) | instid1(VALU_DEP_3)
	v_dual_add_f32 v12, v96, v12 :: v_dual_add_f32 v67, v117, v111
	v_dual_add_f32 v22, v113, v30 :: v_dual_add_f32 v73, v119, v116
	v_add_f32_e32 v30, v61, v50
	v_add_f32_e32 v9, v129, v9
	v_dual_add_f32 v5, v5, v89 :: v_dual_add_f32 v0, v0, v7
	v_dual_add_f32 v21, v21, v33 :: v_dual_add_f32 v24, v71, v30
	v_dual_add_f32 v20, v130, v20 :: v_dual_add_f32 v23, v23, v67
	v_dual_add_f32 v22, v114, v22 :: v_dual_add_f32 v37, v120, v73
	v_dual_add_f32 v33, v122, v34 :: v_dual_add_f32 v34, v65, v36
	v_dual_add_f32 v7, v77, v8 :: v_dual_add_f32 v8, v94, v18
	v_add_f32_e32 v30, v133, v9
	v_add_f32_e32 v18, v84, v35
	s_delay_alu instid0(VALU_DEP_4) | instskip(SKIP_2) | instid1(VALU_DEP_3)
	v_dual_add_f32 v26, v26, v51 :: v_dual_add_f32 v11, v11, v34
	v_dual_add_f32 v34, v0, v1 :: v_dual_add_f32 v23, v25, v23
	v_add_f32_e32 v6, v107, v6
	v_dual_add_f32 v25, v97, v26 :: v_dual_add_f32 v36, v88, v87
	v_dual_add_f32 v5, v90, v5 :: v_dual_add_f32 v18, v85, v18
	;; [unrolled: 1-line block ×3, first 2 shown]
	s_delay_alu instid0(VALU_DEP_3) | instskip(SKIP_1) | instid1(VALU_DEP_4)
	v_dual_add_f32 v27, v27, v4 :: v_dual_add_f32 v4, v101, v25
	v_add_f32_e32 v13, v13, v11
	v_dual_add_f32 v5, v91, v5 :: v_dual_add_f32 v8, v100, v12
	v_dual_add_f32 v12, v137, v30 :: v_dual_add_f32 v21, v127, v21
	s_delay_alu instid0(VALU_DEP_3) | instskip(SKIP_4) | instid1(VALU_DEP_4)
	v_dual_add_f32 v0, v134, v20 :: v_dual_add_f32 v13, v16, v13
	v_add_f32_e32 v16, v34, v14
	v_add_f32_e32 v14, v102, v37
	;; [unrolled: 1-line block ×4, first 2 shown]
	v_dual_add_f32 v9, v19, v10 :: v_dual_add_f32 v20, v16, v32
	v_add_f32_e32 v21, v131, v21
	v_add_f32_e32 v1, v108, v6
	s_delay_alu instid0(VALU_DEP_4) | instskip(SKIP_3) | instid1(VALU_DEP_4)
	v_add_f32_e32 v33, v99, v33
	v_add_f32_e32 v17, v132, v2
	;; [unrolled: 1-line block ×4, first 2 shown]
	v_dual_add_f32 v5, v72, v24 :: v_dual_add_f32 v16, v103, v33
	s_delay_alu instid0(VALU_DEP_4) | instskip(SKIP_2) | instid1(VALU_DEP_3)
	v_dual_add_f32 v3, v3, v70 :: v_dual_add_f32 v10, v136, v17
	v_dual_add_f32 v17, v86, v18 :: v_dual_add_f32 v18, v29, v27
	v_add_f32_e32 v6, v135, v21
	v_dual_add_f32 v35, v3, v68 :: v_dual_add_f32 v36, v78, v7
	v_add_f32_e32 v3, v115, v22
	v_add_f32_e32 v7, v31, v26
	;; [unrolled: 1-line block ×3, first 2 shown]
	s_delay_alu instid0(VALU_DEP_4) | instskip(NEXT) | instid1(VALU_DEP_1)
	v_add_f32_e32 v19, v35, v66
	v_dual_add_f32 v15, v124, v15 :: v_dual_add_f32 v22, v19, v64
	s_delay_alu instid0(VALU_DEP_1) | instskip(SKIP_1) | instid1(VALU_DEP_3)
	v_add_f32_e32 v11, v125, v15
	v_add_f32_e32 v15, v79, v36
	v_dual_add_f32 v19, v93, v39 :: v_dual_add_f32 v20, v22, v62
	ds_store_2addr_b64 v57, v[10:11], v[8:9] offset0:52 offset1:142
	ds_store_2addr_b64 v58, v[6:7], v[4:5] offset0:104 offset1:194
	;; [unrolled: 1-line block ×4, first 2 shown]
	ds_store_2addr_b64 v52, v[20:21], v[12:13] offset1:90
	ds_store_b64 v52, v[18:19] offset:7200
.LBB0_23:
	s_wait_alu 0xfffe
	s_or_b32 exec_lo, exec_lo, s4
	global_wb scope:SCOPE_SE
	s_wait_dscnt 0x0
	s_barrier_signal -1
	s_barrier_wait -1
	global_inv scope:SCOPE_SE
	ds_load_b64 v[2:3], v52
	v_sub_nc_u32_e32 v4, 0, v43
	s_mov_b32 s4, exec_lo
                                        ; implicit-def: $vgpr1
                                        ; implicit-def: $vgpr6
	v_cmpx_ne_u32_e32 0, v42
	s_wait_alu 0xfffe
	s_xor_b32 s4, exec_lo, s4
	s_cbranch_execz .LBB0_25
; %bb.24:
	v_mov_b32_e32 v43, 0
	s_delay_alu instid0(VALU_DEP_1) | instskip(NEXT) | instid1(VALU_DEP_1)
	v_lshlrev_b64_e32 v[0:1], 3, v[42:43]
	v_add_co_u32 v0, s1, s8, v0
	s_wait_alu 0xf1ff
	s_delay_alu instid0(VALU_DEP_2)
	v_add_co_ci_u32_e64 v1, s1, s9, v1, s1
	global_load_b64 v[5:6], v[0:1], off offset:7904
	ds_load_b64 v[0:1], v4 offset:7920
	s_wait_dscnt 0x0
	v_dual_add_f32 v8, v1, v3 :: v_dual_sub_f32 v7, v2, v0
	v_dual_add_f32 v0, v0, v2 :: v_dual_sub_f32 v1, v3, v1
	s_delay_alu instid0(VALU_DEP_2) | instskip(NEXT) | instid1(VALU_DEP_2)
	v_dual_mul_f32 v2, 0.5, v8 :: v_dual_mul_f32 v3, 0.5, v7
	v_mul_f32_e32 v1, 0.5, v1
	s_wait_loadcnt 0x0
	s_delay_alu instid0(VALU_DEP_2) | instskip(NEXT) | instid1(VALU_DEP_2)
	v_mul_f32_e32 v7, v6, v3
	v_fma_f32 v8, v2, v6, v1
	v_fma_f32 v1, v2, v6, -v1
	s_delay_alu instid0(VALU_DEP_3) | instskip(SKIP_1) | instid1(VALU_DEP_4)
	v_fma_f32 v9, 0.5, v0, v7
	v_fma_f32 v0, v0, 0.5, -v7
	v_fma_f32 v6, -v5, v3, v8
	s_delay_alu instid0(VALU_DEP_4) | instskip(NEXT) | instid1(VALU_DEP_4)
	v_fma_f32 v1, -v5, v3, v1
	v_fmac_f32_e32 v9, v5, v2
	s_delay_alu instid0(VALU_DEP_4)
	v_fma_f32 v0, -v5, v2, v0
                                        ; implicit-def: $vgpr2_vgpr3
	ds_store_b32 v52, v9
.LBB0_25:
	s_wait_alu 0xfffe
	s_or_saveexec_b32 s1, s4
	v_sub_nc_u32_e32 v5, 0, v47
	v_sub_nc_u32_e32 v7, 0, v55
	s_wait_alu 0xfffe
	s_xor_b32 exec_lo, exec_lo, s1
	s_cbranch_execz .LBB0_27
; %bb.26:
	v_mov_b32_e32 v6, 0
	s_wait_dscnt 0x0
	v_add_f32_e32 v8, v2, v3
	v_sub_f32_e32 v0, v2, v3
	ds_load_b32 v1, v6 offset:3964
	s_wait_dscnt 0x0
	v_xor_b32_e32 v2, 0x80000000, v1
	v_mov_b32_e32 v1, v6
	ds_store_b32 v52, v8
	ds_store_b32 v6, v2 offset:3964
.LBB0_27:
	s_or_b32 exec_lo, exec_lo, s1
	v_mov_b32_e32 v47, 0
	v_add_nc_u32_e32 v5, v53, v5
	s_wait_dscnt 0x0
	s_delay_alu instid0(VALU_DEP_2) | instskip(SKIP_1) | instid1(VALU_DEP_2)
	v_lshlrev_b64_e32 v[2:3], 3, v[46:47]
	v_mov_b32_e32 v50, v47
	v_add_co_u32 v2, s1, s8, v2
	s_wait_alu 0xf1ff
	s_delay_alu instid0(VALU_DEP_3) | instskip(NEXT) | instid1(VALU_DEP_3)
	v_add_co_ci_u32_e64 v3, s1, s9, v3, s1
	v_lshlrev_b64_e32 v[8:9], 3, v[49:50]
	v_mov_b32_e32 v49, v47
	global_load_b64 v[2:3], v[2:3], off offset:7904
	v_add_co_u32 v8, s1, s8, v8
	s_wait_alu 0xf1ff
	v_add_co_ci_u32_e64 v9, s1, s9, v9, s1
	v_lshlrev_b64_e32 v[10:11], 3, v[48:49]
	global_load_b64 v[8:9], v[8:9], off offset:7904
	v_add_co_u32 v10, s1, s8, v10
	s_wait_alu 0xf1ff
	v_add_co_ci_u32_e64 v11, s1, s9, v11, s1
	global_load_b64 v[10:11], v[10:11], off offset:7904
	ds_store_b32 v52, v6 offset:4
	ds_store_b64 v4, v[0:1] offset:7920
	ds_load_b64 v[0:1], v56
	ds_load_b64 v[12:13], v4 offset:7040
	s_wait_dscnt 0x0
	v_sub_f32_e32 v6, v0, v12
	v_add_f32_e32 v14, v1, v13
	v_dual_sub_f32 v1, v1, v13 :: v_dual_add_f32 v12, v0, v12
	s_delay_alu instid0(VALU_DEP_3) | instskip(NEXT) | instid1(VALU_DEP_3)
	v_mul_f32_e32 v6, 0.5, v6
	v_mul_f32_e32 v13, 0.5, v14
	s_wait_loadcnt 0x2
	s_delay_alu instid0(VALU_DEP_2) | instskip(NEXT) | instid1(VALU_DEP_1)
	v_dual_mul_f32 v1, 0.5, v1 :: v_dual_mul_f32 v14, v3, v6
	v_fma_f32 v15, v13, v3, v1
	v_fma_f32 v3, v13, v3, -v1
	s_delay_alu instid0(VALU_DEP_3) | instskip(SKIP_1) | instid1(VALU_DEP_4)
	v_fma_f32 v0, 0.5, v12, v14
	v_fma_f32 v12, v12, 0.5, -v14
	v_fma_f32 v1, -v2, v6, v15
	s_delay_alu instid0(VALU_DEP_4)
	v_fma_f32 v3, -v2, v6, v3
	v_add_nc_u32_e32 v6, v54, v7
	v_fmac_f32_e32 v0, v2, v13
	v_fma_f32 v2, -v2, v13, v12
	ds_store_b64 v56, v[0:1]
	ds_store_b64 v4, v[2:3] offset:7040
	ds_load_b64 v[0:1], v6
	ds_load_b64 v[2:3], v4 offset:6160
	s_wait_dscnt 0x0
	v_dual_sub_f32 v7, v0, v2 :: v_dual_add_f32 v12, v1, v3
	v_dual_sub_f32 v1, v1, v3 :: v_dual_add_f32 v2, v0, v2
	s_delay_alu instid0(VALU_DEP_2) | instskip(NEXT) | instid1(VALU_DEP_2)
	v_mul_f32_e32 v3, 0.5, v7
	v_mul_f32_e32 v1, 0.5, v1
	s_wait_loadcnt 0x1
	s_delay_alu instid0(VALU_DEP_2) | instskip(NEXT) | instid1(VALU_DEP_1)
	v_dual_mul_f32 v7, 0.5, v12 :: v_dual_mul_f32 v12, v9, v3
	v_fma_f32 v13, v7, v9, v1
	v_fma_f32 v9, v7, v9, -v1
	s_delay_alu instid0(VALU_DEP_3) | instskip(SKIP_1) | instid1(VALU_DEP_4)
	v_fma_f32 v0, 0.5, v2, v12
	v_fma_f32 v2, v2, 0.5, -v12
	v_fma_f32 v1, -v8, v3, v13
	s_delay_alu instid0(VALU_DEP_4) | instskip(NEXT) | instid1(VALU_DEP_4)
	v_fma_f32 v3, -v8, v3, v9
	v_fmac_f32_e32 v0, v8, v7
	s_delay_alu instid0(VALU_DEP_4)
	v_fma_f32 v2, -v8, v7, v2
	ds_store_b64 v6, v[0:1]
	ds_store_b64 v4, v[2:3] offset:6160
	ds_load_b64 v[0:1], v5
	ds_load_b64 v[2:3], v4 offset:5280
	s_wait_dscnt 0x0
	v_dual_sub_f32 v6, v0, v2 :: v_dual_add_f32 v7, v1, v3
	v_dual_sub_f32 v1, v1, v3 :: v_dual_add_f32 v2, v0, v2
	s_delay_alu instid0(VALU_DEP_2) | instskip(NEXT) | instid1(VALU_DEP_2)
	v_dual_mul_f32 v3, 0.5, v6 :: v_dual_mul_f32 v6, 0.5, v7
	v_mul_f32_e32 v1, 0.5, v1
	s_wait_loadcnt 0x0
	s_delay_alu instid0(VALU_DEP_2) | instskip(NEXT) | instid1(VALU_DEP_2)
	v_mul_f32_e32 v7, v11, v3
	v_fma_f32 v8, v6, v11, v1
	v_fma_f32 v9, v6, v11, -v1
	s_delay_alu instid0(VALU_DEP_3) | instskip(NEXT) | instid1(VALU_DEP_3)
	v_fma_f32 v0, 0.5, v2, v7
	v_fma_f32 v1, -v10, v3, v8
	s_delay_alu instid0(VALU_DEP_3) | instskip(NEXT) | instid1(VALU_DEP_3)
	v_fma_f32 v3, -v10, v3, v9
	v_fmac_f32_e32 v0, v10, v6
	v_fma_f32 v2, v2, 0.5, -v7
	s_delay_alu instid0(VALU_DEP_1)
	v_fma_f32 v2, -v10, v6, v2
	ds_store_b64 v5, v[0:1]
	ds_store_b64 v4, v[2:3] offset:5280
	s_and_saveexec_b32 s1, s0
	s_cbranch_execz .LBB0_29
; %bb.28:
	v_mov_b32_e32 v43, v47
	s_add_nc_u64 s[4:5], s[8:9], 0x1ee0
	s_delay_alu instid0(VALU_DEP_1) | instskip(SKIP_1) | instid1(VALU_DEP_1)
	v_lshlrev_b64_e32 v[0:1], 3, v[42:43]
	s_wait_alu 0xfffe
	v_add_co_u32 v0, s0, s4, v0
	s_wait_alu 0xf1ff
	s_delay_alu instid0(VALU_DEP_2)
	v_add_co_ci_u32_e64 v1, s0, s5, v1, s0
	global_load_b64 v[0:1], v[0:1], off offset:3520
	ds_load_b64 v[2:3], v52 offset:3520
	ds_load_b64 v[5:6], v4 offset:4400
	s_wait_dscnt 0x0
	v_dual_sub_f32 v7, v2, v5 :: v_dual_add_f32 v8, v3, v6
	v_dual_sub_f32 v3, v3, v6 :: v_dual_add_f32 v2, v2, v5
	s_delay_alu instid0(VALU_DEP_2) | instskip(NEXT) | instid1(VALU_DEP_2)
	v_dual_mul_f32 v6, 0.5, v7 :: v_dual_mul_f32 v7, 0.5, v8
	v_mul_f32_e32 v3, 0.5, v3
	s_wait_loadcnt 0x0
	s_delay_alu instid0(VALU_DEP_2) | instskip(NEXT) | instid1(VALU_DEP_2)
	v_mul_f32_e32 v5, v1, v6
	v_fma_f32 v8, v7, v1, v3
	v_fma_f32 v3, v7, v1, -v3
	s_delay_alu instid0(VALU_DEP_3) | instskip(SKIP_1) | instid1(VALU_DEP_4)
	v_fma_f32 v1, 0.5, v2, v5
	v_fma_f32 v5, v2, 0.5, -v5
	v_fma_f32 v2, -v0, v6, v8
	s_delay_alu instid0(VALU_DEP_4) | instskip(NEXT) | instid1(VALU_DEP_4)
	v_fma_f32 v6, -v0, v6, v3
	v_fmac_f32_e32 v1, v0, v7
	s_delay_alu instid0(VALU_DEP_4)
	v_fma_f32 v5, -v0, v7, v5
	ds_store_b64 v52, v[1:2] offset:3520
	ds_store_b64 v4, v[5:6] offset:4400
.LBB0_29:
	s_wait_alu 0xfffe
	s_or_b32 exec_lo, exec_lo, s1
	global_wb scope:SCOPE_SE
	s_wait_dscnt 0x0
	s_barrier_signal -1
	s_barrier_wait -1
	global_inv scope:SCOPE_SE
	s_and_saveexec_b32 s0, vcc_lo
	s_cbranch_execz .LBB0_32
; %bb.30:
	v_mul_lo_u32 v2, s3, v44
	v_mul_lo_u32 v3, s2, v45
	v_mad_co_u64_u32 v[0:1], null, s2, v44, 0
	v_dual_mov_b32 v43, 0 :: v_dual_add_nc_u32 v8, 0x6e, v42
	v_lshl_add_u32 v20, v42, 3, 0
	v_lshlrev_b64_e32 v[6:7], 3, v[40:41]
	s_delay_alu instid0(VALU_DEP_3) | instskip(SKIP_1) | instid1(VALU_DEP_4)
	v_dual_mov_b32 v9, v43 :: v_dual_add_nc_u32 v10, 0xdc, v42
	v_add3_u32 v1, v1, v3, v2
	v_dual_mov_b32 v11, v43 :: v_dual_add_nc_u32 v16, 0x400, v20
	ds_load_2addr_b64 v[2:5], v20 offset1:110
	v_lshlrev_b64_e32 v[12:13], 3, v[42:43]
	v_lshlrev_b64_e32 v[0:1], 3, v[0:1]
	;; [unrolled: 1-line block ×4, first 2 shown]
	v_dual_mov_b32 v19, v43 :: v_dual_add_nc_u32 v18, 0x1b8, v42
	v_add_nc_u32_e32 v21, 0xc00, v20
	v_add_co_u32 v0, vcc_lo, s6, v0
	s_wait_alu 0xfffd
	v_add_co_ci_u32_e32 v1, vcc_lo, s7, v1, vcc_lo
	v_lshlrev_b64_e32 v[18:19], 3, v[18:19]
	s_delay_alu instid0(VALU_DEP_3) | instskip(SKIP_1) | instid1(VALU_DEP_3)
	v_add_co_u32 v0, vcc_lo, v0, v6
	s_wait_alu 0xfffd
	v_add_co_ci_u32_e32 v1, vcc_lo, v1, v7, vcc_lo
	ds_load_2addr_b64 v[6:9], v16 offset0:92 offset1:202
	v_dual_mov_b32 v17, v43 :: v_dual_add_nc_u32 v16, 0x14a, v42
	v_add_co_u32 v12, vcc_lo, v0, v12
	s_wait_alu 0xfffd
	v_add_co_ci_u32_e32 v13, vcc_lo, v1, v13, vcc_lo
	v_add_co_u32 v14, vcc_lo, v0, v14
	v_lshlrev_b64_e32 v[16:17], 3, v[16:17]
	s_wait_alu 0xfffd
	v_add_co_ci_u32_e32 v15, vcc_lo, v1, v15, vcc_lo
	v_add_co_u32 v10, vcc_lo, v0, v10
	s_wait_alu 0xfffd
	v_add_co_ci_u32_e32 v11, vcc_lo, v1, v11, vcc_lo
	v_add_co_u32 v16, vcc_lo, v0, v16
	s_wait_alu 0xfffd
	v_add_co_ci_u32_e32 v17, vcc_lo, v1, v17, vcc_lo
	s_wait_dscnt 0x1
	s_clause 0x1
	global_store_b64 v[12:13], v[2:3], off
	global_store_b64 v[14:15], v[4:5], off
	s_wait_dscnt 0x0
	s_clause 0x1
	global_store_b64 v[10:11], v[6:7], off
	global_store_b64 v[16:17], v[8:9], off
	v_dual_mov_b32 v7, v43 :: v_dual_add_nc_u32 v6, 0x226, v42
	v_dual_mov_b32 v13, v43 :: v_dual_add_nc_u32 v12, 0x294, v42
	v_add_co_u32 v10, vcc_lo, v0, v18
	s_delay_alu instid0(VALU_DEP_3)
	v_lshlrev_b64_e32 v[6:7], 3, v[6:7]
	v_dual_mov_b32 v15, v43 :: v_dual_add_nc_u32 v8, 0x1400, v20
	v_add_nc_u32_e32 v14, 0x302, v42
	s_wait_alu 0xfffd
	v_add_co_ci_u32_e32 v11, vcc_lo, v1, v19, vcc_lo
	v_mov_b32_e32 v19, v43
	ds_load_2addr_b64 v[2:5], v21 offset0:56 offset1:166
	v_add_co_u32 v16, vcc_lo, v0, v6
	v_lshlrev_b64_e32 v[12:13], 3, v[12:13]
	v_add_nc_u32_e32 v18, 0x370, v42
	s_wait_alu 0xfffd
	v_add_co_ci_u32_e32 v17, vcc_lo, v1, v7, vcc_lo
	ds_load_2addr_b64 v[6:9], v8 offset0:20 offset1:130
	v_lshlrev_b64_e32 v[14:15], 3, v[14:15]
	ds_load_b64 v[20:21], v20 offset:7040
	v_add_co_u32 v12, vcc_lo, v0, v12
	v_lshlrev_b64_e32 v[18:19], 3, v[18:19]
	s_wait_alu 0xfffd
	v_add_co_ci_u32_e32 v13, vcc_lo, v1, v13, vcc_lo
	v_add_co_u32 v14, vcc_lo, v0, v14
	s_wait_alu 0xfffd
	v_add_co_ci_u32_e32 v15, vcc_lo, v1, v15, vcc_lo
	v_add_co_u32 v18, vcc_lo, v0, v18
	s_wait_alu 0xfffd
	v_add_co_ci_u32_e32 v19, vcc_lo, v1, v19, vcc_lo
	v_cmp_eq_u32_e32 vcc_lo, 0x6d, v42
	s_wait_dscnt 0x2
	s_clause 0x1
	global_store_b64 v[10:11], v[2:3], off
	global_store_b64 v[16:17], v[4:5], off
	s_wait_dscnt 0x1
	s_clause 0x1
	global_store_b64 v[12:13], v[6:7], off
	global_store_b64 v[14:15], v[8:9], off
	s_wait_dscnt 0x0
	global_store_b64 v[18:19], v[20:21], off
	s_and_b32 exec_lo, exec_lo, vcc_lo
	s_cbranch_execz .LBB0_32
; %bb.31:
	ds_load_b64 v[2:3], v43 offset:7920
	s_wait_dscnt 0x0
	global_store_b64 v[0:1], v[2:3], off offset:7920
.LBB0_32:
	s_nop 0
	s_sendmsg sendmsg(MSG_DEALLOC_VGPRS)
	s_endpgm
	.section	.rodata,"a",@progbits
	.p2align	6, 0x0
	.amdhsa_kernel fft_rtc_back_len990_factors_2_3_3_5_11_wgs_110_tpt_110_sp_op_CI_CI_unitstride_sbrr_R2C_dirReg
		.amdhsa_group_segment_fixed_size 0
		.amdhsa_private_segment_fixed_size 0
		.amdhsa_kernarg_size 104
		.amdhsa_user_sgpr_count 2
		.amdhsa_user_sgpr_dispatch_ptr 0
		.amdhsa_user_sgpr_queue_ptr 0
		.amdhsa_user_sgpr_kernarg_segment_ptr 1
		.amdhsa_user_sgpr_dispatch_id 0
		.amdhsa_user_sgpr_private_segment_size 0
		.amdhsa_wavefront_size32 1
		.amdhsa_uses_dynamic_stack 0
		.amdhsa_enable_private_segment 0
		.amdhsa_system_sgpr_workgroup_id_x 1
		.amdhsa_system_sgpr_workgroup_id_y 0
		.amdhsa_system_sgpr_workgroup_id_z 0
		.amdhsa_system_sgpr_workgroup_info 0
		.amdhsa_system_vgpr_workitem_id 0
		.amdhsa_next_free_vgpr 138
		.amdhsa_next_free_sgpr 39
		.amdhsa_reserve_vcc 1
		.amdhsa_float_round_mode_32 0
		.amdhsa_float_round_mode_16_64 0
		.amdhsa_float_denorm_mode_32 3
		.amdhsa_float_denorm_mode_16_64 3
		.amdhsa_fp16_overflow 0
		.amdhsa_workgroup_processor_mode 1
		.amdhsa_memory_ordered 1
		.amdhsa_forward_progress 0
		.amdhsa_round_robin_scheduling 0
		.amdhsa_exception_fp_ieee_invalid_op 0
		.amdhsa_exception_fp_denorm_src 0
		.amdhsa_exception_fp_ieee_div_zero 0
		.amdhsa_exception_fp_ieee_overflow 0
		.amdhsa_exception_fp_ieee_underflow 0
		.amdhsa_exception_fp_ieee_inexact 0
		.amdhsa_exception_int_div_zero 0
	.end_amdhsa_kernel
	.text
.Lfunc_end0:
	.size	fft_rtc_back_len990_factors_2_3_3_5_11_wgs_110_tpt_110_sp_op_CI_CI_unitstride_sbrr_R2C_dirReg, .Lfunc_end0-fft_rtc_back_len990_factors_2_3_3_5_11_wgs_110_tpt_110_sp_op_CI_CI_unitstride_sbrr_R2C_dirReg
                                        ; -- End function
	.section	.AMDGPU.csdata,"",@progbits
; Kernel info:
; codeLenInByte = 9240
; NumSgprs: 41
; NumVgprs: 138
; ScratchSize: 0
; MemoryBound: 0
; FloatMode: 240
; IeeeMode: 1
; LDSByteSize: 0 bytes/workgroup (compile time only)
; SGPRBlocks: 5
; VGPRBlocks: 17
; NumSGPRsForWavesPerEU: 41
; NumVGPRsForWavesPerEU: 138
; Occupancy: 10
; WaveLimiterHint : 1
; COMPUTE_PGM_RSRC2:SCRATCH_EN: 0
; COMPUTE_PGM_RSRC2:USER_SGPR: 2
; COMPUTE_PGM_RSRC2:TRAP_HANDLER: 0
; COMPUTE_PGM_RSRC2:TGID_X_EN: 1
; COMPUTE_PGM_RSRC2:TGID_Y_EN: 0
; COMPUTE_PGM_RSRC2:TGID_Z_EN: 0
; COMPUTE_PGM_RSRC2:TIDIG_COMP_CNT: 0
	.text
	.p2alignl 7, 3214868480
	.fill 96, 4, 3214868480
	.type	__hip_cuid_dcfa9028ae5e25e6,@object ; @__hip_cuid_dcfa9028ae5e25e6
	.section	.bss,"aw",@nobits
	.globl	__hip_cuid_dcfa9028ae5e25e6
__hip_cuid_dcfa9028ae5e25e6:
	.byte	0                               ; 0x0
	.size	__hip_cuid_dcfa9028ae5e25e6, 1

	.ident	"AMD clang version 19.0.0git (https://github.com/RadeonOpenCompute/llvm-project roc-6.4.0 25133 c7fe45cf4b819c5991fe208aaa96edf142730f1d)"
	.section	".note.GNU-stack","",@progbits
	.addrsig
	.addrsig_sym __hip_cuid_dcfa9028ae5e25e6
	.amdgpu_metadata
---
amdhsa.kernels:
  - .args:
      - .actual_access:  read_only
        .address_space:  global
        .offset:         0
        .size:           8
        .value_kind:     global_buffer
      - .offset:         8
        .size:           8
        .value_kind:     by_value
      - .actual_access:  read_only
        .address_space:  global
        .offset:         16
        .size:           8
        .value_kind:     global_buffer
      - .actual_access:  read_only
        .address_space:  global
        .offset:         24
        .size:           8
        .value_kind:     global_buffer
      - .actual_access:  read_only
        .address_space:  global
        .offset:         32
        .size:           8
        .value_kind:     global_buffer
      - .offset:         40
        .size:           8
        .value_kind:     by_value
      - .actual_access:  read_only
        .address_space:  global
        .offset:         48
        .size:           8
        .value_kind:     global_buffer
      - .actual_access:  read_only
        .address_space:  global
        .offset:         56
        .size:           8
        .value_kind:     global_buffer
      - .offset:         64
        .size:           4
        .value_kind:     by_value
      - .actual_access:  read_only
        .address_space:  global
        .offset:         72
        .size:           8
        .value_kind:     global_buffer
      - .actual_access:  read_only
        .address_space:  global
        .offset:         80
        .size:           8
        .value_kind:     global_buffer
      - .actual_access:  read_only
        .address_space:  global
        .offset:         88
        .size:           8
        .value_kind:     global_buffer
      - .actual_access:  write_only
        .address_space:  global
        .offset:         96
        .size:           8
        .value_kind:     global_buffer
    .group_segment_fixed_size: 0
    .kernarg_segment_align: 8
    .kernarg_segment_size: 104
    .language:       OpenCL C
    .language_version:
      - 2
      - 0
    .max_flat_workgroup_size: 110
    .name:           fft_rtc_back_len990_factors_2_3_3_5_11_wgs_110_tpt_110_sp_op_CI_CI_unitstride_sbrr_R2C_dirReg
    .private_segment_fixed_size: 0
    .sgpr_count:     41
    .sgpr_spill_count: 0
    .symbol:         fft_rtc_back_len990_factors_2_3_3_5_11_wgs_110_tpt_110_sp_op_CI_CI_unitstride_sbrr_R2C_dirReg.kd
    .uniform_work_group_size: 1
    .uses_dynamic_stack: false
    .vgpr_count:     138
    .vgpr_spill_count: 0
    .wavefront_size: 32
    .workgroup_processor_mode: 1
amdhsa.target:   amdgcn-amd-amdhsa--gfx1201
amdhsa.version:
  - 1
  - 2
...

	.end_amdgpu_metadata
